;; amdgpu-corpus repo=ROCm/rocFFT kind=compiled arch=gfx906 opt=O3
	.text
	.amdgcn_target "amdgcn-amd-amdhsa--gfx906"
	.amdhsa_code_object_version 6
	.protected	fft_rtc_fwd_len560_factors_8_7_5_2_wgs_56_tpt_56_half_op_CI_CI_unitstride_sbrr_C2R_dirReg ; -- Begin function fft_rtc_fwd_len560_factors_8_7_5_2_wgs_56_tpt_56_half_op_CI_CI_unitstride_sbrr_C2R_dirReg
	.globl	fft_rtc_fwd_len560_factors_8_7_5_2_wgs_56_tpt_56_half_op_CI_CI_unitstride_sbrr_C2R_dirReg
	.p2align	8
	.type	fft_rtc_fwd_len560_factors_8_7_5_2_wgs_56_tpt_56_half_op_CI_CI_unitstride_sbrr_C2R_dirReg,@function
fft_rtc_fwd_len560_factors_8_7_5_2_wgs_56_tpt_56_half_op_CI_CI_unitstride_sbrr_C2R_dirReg: ; @fft_rtc_fwd_len560_factors_8_7_5_2_wgs_56_tpt_56_half_op_CI_CI_unitstride_sbrr_C2R_dirReg
; %bb.0:
	s_load_dwordx4 s[8:11], s[4:5], 0x58
	s_load_dwordx4 s[12:15], s[4:5], 0x0
	;; [unrolled: 1-line block ×3, first 2 shown]
	v_mul_u32_u24_e32 v1, 0x493, v0
	v_add_u32_sdwa v10, s6, v1 dst_sel:DWORD dst_unused:UNUSED_PAD src0_sel:DWORD src1_sel:WORD_1
	v_mov_b32_e32 v8, 0
	s_waitcnt lgkmcnt(0)
	v_cmp_lt_u64_e64 s[0:1], s[14:15], 2
	v_mov_b32_e32 v1, 0
	v_mov_b32_e32 v11, v8
	s_and_b64 vcc, exec, s[0:1]
	v_mov_b32_e32 v2, 0
	s_cbranch_vccnz .LBB0_8
; %bb.1:
	s_load_dwordx2 s[0:1], s[4:5], 0x10
	s_add_u32 s2, s18, 8
	s_addc_u32 s3, s19, 0
	s_add_u32 s6, s16, 8
	v_mov_b32_e32 v1, 0
	s_addc_u32 s7, s17, 0
	v_mov_b32_e32 v2, 0
	s_waitcnt lgkmcnt(0)
	s_add_u32 s20, s0, 8
	v_mov_b32_e32 v5, v2
	s_addc_u32 s21, s1, 0
	s_mov_b64 s[22:23], 1
	v_mov_b32_e32 v4, v1
.LBB0_2:                                ; =>This Inner Loop Header: Depth=1
	s_load_dwordx2 s[24:25], s[20:21], 0x0
                                        ; implicit-def: $vgpr6_vgpr7
	s_waitcnt lgkmcnt(0)
	v_or_b32_e32 v9, s25, v11
	v_cmp_ne_u64_e32 vcc, 0, v[8:9]
	s_and_saveexec_b64 s[0:1], vcc
	s_xor_b64 s[26:27], exec, s[0:1]
	s_cbranch_execz .LBB0_4
; %bb.3:                                ;   in Loop: Header=BB0_2 Depth=1
	v_cvt_f32_u32_e32 v3, s24
	v_cvt_f32_u32_e32 v6, s25
	s_sub_u32 s0, 0, s24
	s_subb_u32 s1, 0, s25
	v_mac_f32_e32 v3, 0x4f800000, v6
	v_rcp_f32_e32 v3, v3
	v_mul_f32_e32 v3, 0x5f7ffffc, v3
	v_mul_f32_e32 v6, 0x2f800000, v3
	v_trunc_f32_e32 v6, v6
	v_mac_f32_e32 v3, 0xcf800000, v6
	v_cvt_u32_f32_e32 v6, v6
	v_cvt_u32_f32_e32 v3, v3
	v_mul_lo_u32 v7, s0, v6
	v_mul_hi_u32 v9, s0, v3
	v_mul_lo_u32 v13, s1, v3
	v_mul_lo_u32 v12, s0, v3
	v_add_u32_e32 v7, v9, v7
	v_add_u32_e32 v7, v7, v13
	v_mul_hi_u32 v9, v3, v12
	v_mul_lo_u32 v13, v3, v7
	v_mul_hi_u32 v15, v3, v7
	v_mul_hi_u32 v14, v6, v12
	v_mul_lo_u32 v12, v6, v12
	v_mul_hi_u32 v16, v6, v7
	v_add_co_u32_e32 v9, vcc, v9, v13
	v_addc_co_u32_e32 v13, vcc, 0, v15, vcc
	v_mul_lo_u32 v7, v6, v7
	v_add_co_u32_e32 v9, vcc, v9, v12
	v_addc_co_u32_e32 v9, vcc, v13, v14, vcc
	v_addc_co_u32_e32 v12, vcc, 0, v16, vcc
	v_add_co_u32_e32 v7, vcc, v9, v7
	v_addc_co_u32_e32 v9, vcc, 0, v12, vcc
	v_add_co_u32_e32 v3, vcc, v3, v7
	v_addc_co_u32_e32 v6, vcc, v6, v9, vcc
	v_mul_lo_u32 v7, s0, v6
	v_mul_hi_u32 v9, s0, v3
	v_mul_lo_u32 v12, s1, v3
	v_mul_lo_u32 v13, s0, v3
	v_add_u32_e32 v7, v9, v7
	v_add_u32_e32 v7, v7, v12
	v_mul_lo_u32 v14, v3, v7
	v_mul_hi_u32 v15, v3, v13
	v_mul_hi_u32 v16, v3, v7
	v_mul_hi_u32 v12, v6, v13
	v_mul_lo_u32 v13, v6, v13
	v_mul_hi_u32 v9, v6, v7
	v_add_co_u32_e32 v14, vcc, v15, v14
	v_addc_co_u32_e32 v15, vcc, 0, v16, vcc
	v_mul_lo_u32 v7, v6, v7
	v_add_co_u32_e32 v13, vcc, v14, v13
	v_addc_co_u32_e32 v12, vcc, v15, v12, vcc
	v_addc_co_u32_e32 v9, vcc, 0, v9, vcc
	v_add_co_u32_e32 v7, vcc, v12, v7
	v_addc_co_u32_e32 v9, vcc, 0, v9, vcc
	v_add_co_u32_e32 v3, vcc, v3, v7
	v_addc_co_u32_e32 v9, vcc, v6, v9, vcc
	v_mad_u64_u32 v[6:7], s[0:1], v10, v9, 0
	v_mul_hi_u32 v12, v10, v3
	v_add_co_u32_e32 v14, vcc, v12, v6
	v_addc_co_u32_e32 v15, vcc, 0, v7, vcc
	v_mad_u64_u32 v[6:7], s[0:1], v11, v3, 0
	v_mad_u64_u32 v[12:13], s[0:1], v11, v9, 0
	v_add_co_u32_e32 v3, vcc, v14, v6
	v_addc_co_u32_e32 v3, vcc, v15, v7, vcc
	v_addc_co_u32_e32 v6, vcc, 0, v13, vcc
	v_add_co_u32_e32 v3, vcc, v3, v12
	v_addc_co_u32_e32 v9, vcc, 0, v6, vcc
	v_mul_lo_u32 v12, s25, v3
	v_mul_lo_u32 v13, s24, v9
	v_mad_u64_u32 v[6:7], s[0:1], s24, v3, 0
	v_add3_u32 v7, v7, v13, v12
	v_sub_u32_e32 v12, v11, v7
	v_mov_b32_e32 v13, s25
	v_sub_co_u32_e32 v6, vcc, v10, v6
	v_subb_co_u32_e64 v12, s[0:1], v12, v13, vcc
	v_subrev_co_u32_e64 v13, s[0:1], s24, v6
	v_subbrev_co_u32_e64 v12, s[0:1], 0, v12, s[0:1]
	v_cmp_le_u32_e64 s[0:1], s25, v12
	v_cndmask_b32_e64 v14, 0, -1, s[0:1]
	v_cmp_le_u32_e64 s[0:1], s24, v13
	v_cndmask_b32_e64 v13, 0, -1, s[0:1]
	v_cmp_eq_u32_e64 s[0:1], s25, v12
	v_cndmask_b32_e64 v12, v14, v13, s[0:1]
	v_add_co_u32_e64 v13, s[0:1], 2, v3
	v_addc_co_u32_e64 v14, s[0:1], 0, v9, s[0:1]
	v_add_co_u32_e64 v15, s[0:1], 1, v3
	v_addc_co_u32_e64 v16, s[0:1], 0, v9, s[0:1]
	v_subb_co_u32_e32 v7, vcc, v11, v7, vcc
	v_cmp_ne_u32_e64 s[0:1], 0, v12
	v_cmp_le_u32_e32 vcc, s25, v7
	v_cndmask_b32_e64 v12, v16, v14, s[0:1]
	v_cndmask_b32_e64 v14, 0, -1, vcc
	v_cmp_le_u32_e32 vcc, s24, v6
	v_cndmask_b32_e64 v6, 0, -1, vcc
	v_cmp_eq_u32_e32 vcc, s25, v7
	v_cndmask_b32_e32 v6, v14, v6, vcc
	v_cmp_ne_u32_e32 vcc, 0, v6
	v_cndmask_b32_e64 v6, v15, v13, s[0:1]
	v_cndmask_b32_e32 v7, v9, v12, vcc
	v_cndmask_b32_e32 v6, v3, v6, vcc
.LBB0_4:                                ;   in Loop: Header=BB0_2 Depth=1
	s_andn2_saveexec_b64 s[0:1], s[26:27]
	s_cbranch_execz .LBB0_6
; %bb.5:                                ;   in Loop: Header=BB0_2 Depth=1
	v_cvt_f32_u32_e32 v3, s24
	s_sub_i32 s26, 0, s24
	v_rcp_iflag_f32_e32 v3, v3
	v_mul_f32_e32 v3, 0x4f7ffffe, v3
	v_cvt_u32_f32_e32 v3, v3
	v_mul_lo_u32 v6, s26, v3
	v_mul_hi_u32 v6, v3, v6
	v_add_u32_e32 v3, v3, v6
	v_mul_hi_u32 v3, v10, v3
	v_mul_lo_u32 v6, v3, s24
	v_add_u32_e32 v7, 1, v3
	v_sub_u32_e32 v6, v10, v6
	v_subrev_u32_e32 v9, s24, v6
	v_cmp_le_u32_e32 vcc, s24, v6
	v_cndmask_b32_e32 v6, v6, v9, vcc
	v_cndmask_b32_e32 v3, v3, v7, vcc
	v_add_u32_e32 v7, 1, v3
	v_cmp_le_u32_e32 vcc, s24, v6
	v_cndmask_b32_e32 v6, v3, v7, vcc
	v_mov_b32_e32 v7, v8
.LBB0_6:                                ;   in Loop: Header=BB0_2 Depth=1
	s_or_b64 exec, exec, s[0:1]
	v_mul_lo_u32 v3, v7, s24
	v_mul_lo_u32 v9, v6, s25
	v_mad_u64_u32 v[12:13], s[0:1], v6, s24, 0
	s_load_dwordx2 s[0:1], s[6:7], 0x0
	s_load_dwordx2 s[24:25], s[2:3], 0x0
	v_add3_u32 v3, v13, v9, v3
	v_sub_co_u32_e32 v9, vcc, v10, v12
	v_subb_co_u32_e32 v3, vcc, v11, v3, vcc
	s_waitcnt lgkmcnt(0)
	v_mul_lo_u32 v10, s0, v3
	v_mul_lo_u32 v11, s1, v9
	v_mad_u64_u32 v[1:2], s[0:1], s0, v9, v[1:2]
	s_add_u32 s22, s22, 1
	s_addc_u32 s23, s23, 0
	s_add_u32 s2, s2, 8
	v_mul_lo_u32 v3, s24, v3
	v_mul_lo_u32 v12, s25, v9
	v_mad_u64_u32 v[4:5], s[0:1], s24, v9, v[4:5]
	v_add3_u32 v2, v11, v2, v10
	s_addc_u32 s3, s3, 0
	v_mov_b32_e32 v9, s14
	s_add_u32 s6, s6, 8
	v_mov_b32_e32 v10, s15
	s_addc_u32 s7, s7, 0
	v_cmp_ge_u64_e32 vcc, s[22:23], v[9:10]
	s_add_u32 s20, s20, 8
	v_add3_u32 v5, v12, v5, v3
	s_addc_u32 s21, s21, 0
	s_cbranch_vccnz .LBB0_9
; %bb.7:                                ;   in Loop: Header=BB0_2 Depth=1
	v_mov_b32_e32 v11, v7
	v_mov_b32_e32 v10, v6
	s_branch .LBB0_2
.LBB0_8:
	v_mov_b32_e32 v5, v2
	v_mov_b32_e32 v6, v10
	;; [unrolled: 1-line block ×4, first 2 shown]
.LBB0_9:
	s_load_dwordx2 s[0:1], s[4:5], 0x28
	s_lshl_b64 s[6:7], s[14:15], 3
	s_add_u32 s2, s18, s6
	s_addc_u32 s3, s19, s7
                                        ; implicit-def: $vgpr8
                                        ; implicit-def: $vgpr11_vgpr12
	s_waitcnt lgkmcnt(0)
	v_cmp_gt_u64_e32 vcc, s[0:1], v[6:7]
	v_cmp_le_u64_e64 s[0:1], s[0:1], v[6:7]
	s_and_saveexec_b64 s[4:5], s[0:1]
	s_xor_b64 s[0:1], exec, s[4:5]
; %bb.10:
	s_mov_b32 s4, 0x4924925
	v_mul_hi_u32 v1, v0, s4
	v_mov_b32_e32 v9, 0
	v_mul_u32_u24_e32 v1, 56, v1
	v_sub_u32_e32 v8, v0, v1
	v_mov_b32_e32 v12, v9
	v_mov_b32_e32 v11, v8
                                        ; implicit-def: $vgpr0
                                        ; implicit-def: $vgpr1_vgpr2
; %bb.11:
	s_or_saveexec_b64 s[4:5], s[0:1]
	s_load_dwordx2 s[2:3], s[2:3], 0x0
	s_xor_b64 exec, exec, s[4:5]
	s_cbranch_execz .LBB0_15
; %bb.12:
	s_add_u32 s0, s16, s6
	s_addc_u32 s1, s17, s7
	s_load_dwordx2 s[0:1], s[0:1], 0x0
	s_mov_b32 s6, 0x4924925
	v_mul_hi_u32 v3, v0, s6
	s_waitcnt lgkmcnt(0)
	v_mul_lo_u32 v11, s1, v6
	v_mul_lo_u32 v12, s0, v7
	v_mad_u64_u32 v[9:10], s[0:1], s0, v6, 0
	v_mul_u32_u24_e32 v3, 56, v3
	v_sub_u32_e32 v8, v0, v3
	v_add3_u32 v10, v10, v12, v11
	v_lshlrev_b64 v[9:10], 2, v[9:10]
	v_mov_b32_e32 v0, s9
	v_add_co_u32_e64 v3, s[0:1], s8, v9
	v_addc_co_u32_e64 v9, s[0:1], v0, v10, s[0:1]
	v_lshlrev_b64 v[0:1], 2, v[1:2]
	v_lshlrev_b32_e32 v10, 2, v8
	v_add_co_u32_e64 v0, s[0:1], v3, v0
	v_addc_co_u32_e64 v1, s[0:1], v9, v1, s[0:1]
	v_add_co_u32_e64 v2, s[0:1], v0, v10
	v_addc_co_u32_e64 v3, s[0:1], 0, v1, s[0:1]
	global_load_dword v11, v[2:3], off
	global_load_dword v12, v[2:3], off offset:224
	global_load_dword v13, v[2:3], off offset:448
	;; [unrolled: 1-line block ×9, first 2 shown]
	v_mov_b32_e32 v9, 0
	v_add_u32_e32 v2, 0, v10
	v_add_u32_e32 v3, 0x200, v2
	;; [unrolled: 1-line block ×3, first 2 shown]
	v_cmp_eq_u32_e64 s[0:1], 55, v8
	s_waitcnt vmcnt(8)
	ds_write2_b32 v2, v11, v12 offset1:56
	s_waitcnt vmcnt(6)
	ds_write2_b32 v2, v13, v14 offset0:112 offset1:168
	s_waitcnt vmcnt(4)
	ds_write2_b32 v3, v15, v16 offset0:96 offset1:152
	;; [unrolled: 2-line block ×4, first 2 shown]
	v_mov_b32_e32 v12, v9
	v_mov_b32_e32 v11, v8
	s_and_saveexec_b64 s[6:7], s[0:1]
	s_cbranch_execz .LBB0_14
; %bb.13:
	global_load_dword v0, v[0:1], off offset:2240
	v_mov_b32_e32 v11, 55
	v_mov_b32_e32 v12, 0
	;; [unrolled: 1-line block ×3, first 2 shown]
	s_waitcnt vmcnt(0)
	ds_write_b32 v9, v0 offset:2240
.LBB0_14:
	s_or_b64 exec, exec, s[6:7]
.LBB0_15:
	s_or_b64 exec, exec, s[4:5]
	v_lshlrev_b32_e32 v10, 2, v8
	v_add_u32_e32 v30, 0, v10
	s_waitcnt lgkmcnt(0)
	; wave barrier
	s_waitcnt lgkmcnt(0)
	v_sub_u32_e32 v0, 0, v10
	ds_read_u16 v1, v30
	ds_read_u16 v3, v0 offset:2240
	v_lshlrev_b64 v[12:13], 2, v[11:12]
	v_cmp_ne_u32_e64 s[0:1], 0, v8
	s_waitcnt lgkmcnt(0)
	v_add_f16_e32 v2, v3, v1
	v_sub_f16_e32 v1, v1, v3
	s_and_saveexec_b64 s[4:5], s[0:1]
	s_xor_b64 s[4:5], exec, s[4:5]
	s_cbranch_execz .LBB0_17
; %bb.16:
	v_mov_b32_e32 v3, s13
	v_add_co_u32_e64 v14, s[0:1], s12, v12
	v_addc_co_u32_e64 v15, s[0:1], v3, v13, s[0:1]
	global_load_dword v3, v[14:15], off offset:2208
	ds_read_u16 v9, v0 offset:2242
	ds_read_u16 v11, v30 offset:2
	s_waitcnt lgkmcnt(0)
	v_add_f16_e32 v14, v9, v11
	v_sub_f16_e32 v9, v11, v9
	s_waitcnt vmcnt(0)
	v_lshrrev_b32_e32 v11, 16, v3
	v_fma_f16 v15, v1, v11, v2
	v_fma_f16 v16, v14, v11, v9
	v_fma_f16 v2, -v1, v11, v2
	v_fma_f16 v9, v14, v11, -v9
	v_fma_f16 v11, -v3, v14, v15
	v_fma_f16 v15, v1, v3, v16
	v_fma_f16 v2, v3, v14, v2
	;; [unrolled: 1-line block ×3, first 2 shown]
	v_pack_b32_f16 v3, v11, v15
	v_pack_b32_f16 v1, v2, v1
	ds_write_b32 v30, v3
	ds_write_b32 v0, v1 offset:2240
                                        ; implicit-def: $vgpr2
                                        ; implicit-def: $vgpr1
.LBB0_17:
	s_andn2_saveexec_b64 s[0:1], s[4:5]
	s_cbranch_execz .LBB0_19
; %bb.18:
	v_pack_b32_f16 v1, v2, v1
	ds_write_b32 v30, v1
	v_mov_b32_e32 v1, 0
	ds_read_b32 v2, v1 offset:1120
	s_mov_b32 s4, 0xc0004000
	s_waitcnt lgkmcnt(0)
	v_pk_mul_f16 v2, v2, s4
	ds_write_b32 v1, v2 offset:1120
.LBB0_19:
	s_or_b64 exec, exec, s[0:1]
	v_mov_b32_e32 v9, 0
	s_add_u32 s0, s12, 0x8a0
	v_lshlrev_b64 v[14:15], 2, v[8:9]
	s_addc_u32 s1, s13, 0
	v_mov_b32_e32 v2, s1
	v_add_co_u32_e64 v1, s[0:1], s0, v14
	v_addc_co_u32_e64 v2, s[0:1], v2, v15, s[0:1]
	global_load_dword v3, v[1:2], off offset:224
	global_load_dword v9, v[1:2], off offset:448
	;; [unrolled: 1-line block ×4, first 2 shown]
	ds_read_b32 v1, v30 offset:224
	ds_read_b32 v2, v0 offset:2016
	s_mov_b32 s0, 0xb9a8
	s_movk_i32 s1, 0x39a8
	v_mad_u32_u24 v33, v8, 28, v30
	s_waitcnt lgkmcnt(0)
	v_add_f16_e32 v17, v1, v2
	v_add_f16_sdwa v18, v2, v1 dst_sel:DWORD dst_unused:UNUSED_PAD src0_sel:WORD_1 src1_sel:WORD_1
	v_sub_f16_e32 v19, v1, v2
	v_sub_f16_sdwa v1, v1, v2 dst_sel:DWORD dst_unused:UNUSED_PAD src0_sel:WORD_1 src1_sel:WORD_1
	s_waitcnt vmcnt(3)
	v_lshrrev_b32_e32 v2, 16, v3
	v_fma_f16 v20, v19, v2, v17
	v_fma_f16 v21, v18, v2, v1
	v_fma_f16 v17, -v19, v2, v17
	v_fma_f16 v1, v18, v2, -v1
	v_fma_f16 v2, -v3, v18, v20
	v_fma_f16 v20, v19, v3, v21
	v_fma_f16 v17, v3, v18, v17
	;; [unrolled: 1-line block ×3, first 2 shown]
	v_pack_b32_f16 v2, v2, v20
	v_pack_b32_f16 v1, v17, v1
	ds_write_b32 v30, v2 offset:224
	ds_write_b32 v0, v1 offset:2016
	ds_read_b32 v1, v30 offset:448
	ds_read_b32 v2, v0 offset:1792
	s_waitcnt vmcnt(2)
	v_lshrrev_b32_e32 v3, 16, v9
	s_waitcnt lgkmcnt(0)
	v_add_f16_e32 v17, v1, v2
	v_add_f16_sdwa v18, v2, v1 dst_sel:DWORD dst_unused:UNUSED_PAD src0_sel:WORD_1 src1_sel:WORD_1
	v_sub_f16_e32 v19, v1, v2
	v_sub_f16_sdwa v1, v1, v2 dst_sel:DWORD dst_unused:UNUSED_PAD src0_sel:WORD_1 src1_sel:WORD_1
	v_fma_f16 v2, v19, v3, v17
	v_fma_f16 v20, v18, v3, v1
	v_fma_f16 v17, -v19, v3, v17
	v_fma_f16 v1, v18, v3, -v1
	v_fma_f16 v2, -v9, v18, v2
	v_fma_f16 v3, v19, v9, v20
	v_fma_f16 v17, v9, v18, v17
	;; [unrolled: 1-line block ×3, first 2 shown]
	v_pack_b32_f16 v2, v2, v3
	v_pack_b32_f16 v1, v17, v1
	ds_write_b32 v30, v2 offset:448
	ds_write_b32 v0, v1 offset:1792
	ds_read_b32 v1, v30 offset:672
	ds_read_b32 v2, v0 offset:1568
	s_waitcnt vmcnt(1)
	v_lshrrev_b32_e32 v3, 16, v11
	v_add_u32_e32 v9, 0x200, v30
	s_waitcnt lgkmcnt(0)
	v_add_f16_e32 v17, v1, v2
	v_add_f16_sdwa v18, v2, v1 dst_sel:DWORD dst_unused:UNUSED_PAD src0_sel:WORD_1 src1_sel:WORD_1
	v_sub_f16_e32 v19, v1, v2
	v_sub_f16_sdwa v1, v1, v2 dst_sel:DWORD dst_unused:UNUSED_PAD src0_sel:WORD_1 src1_sel:WORD_1
	v_fma_f16 v2, v19, v3, v17
	v_fma_f16 v20, v18, v3, v1
	v_fma_f16 v17, -v19, v3, v17
	v_fma_f16 v1, v18, v3, -v1
	v_fma_f16 v2, -v11, v18, v2
	v_fma_f16 v3, v19, v11, v20
	v_fma_f16 v17, v11, v18, v17
	;; [unrolled: 1-line block ×3, first 2 shown]
	v_pack_b32_f16 v2, v2, v3
	v_pack_b32_f16 v1, v17, v1
	ds_write_b32 v30, v2 offset:672
	ds_write_b32 v0, v1 offset:1568
	ds_read_b32 v2, v30 offset:896
	ds_read_b32 v3, v0 offset:1344
	s_waitcnt vmcnt(0)
	v_lshrrev_b32_e32 v17, 16, v16
	v_add_u32_e32 v1, 0x400, v30
	v_add_u32_e32 v11, 0x600, v30
	s_waitcnt lgkmcnt(0)
	v_add_f16_e32 v18, v2, v3
	v_add_f16_sdwa v19, v3, v2 dst_sel:DWORD dst_unused:UNUSED_PAD src0_sel:WORD_1 src1_sel:WORD_1
	v_sub_f16_e32 v20, v2, v3
	v_sub_f16_sdwa v2, v2, v3 dst_sel:DWORD dst_unused:UNUSED_PAD src0_sel:WORD_1 src1_sel:WORD_1
	v_fma_f16 v3, v20, v17, v18
	v_fma_f16 v21, v19, v17, v2
	v_fma_f16 v18, -v20, v17, v18
	v_fma_f16 v2, v19, v17, -v2
	v_fma_f16 v3, -v16, v19, v3
	v_fma_f16 v17, v20, v16, v21
	v_fma_f16 v18, v16, v19, v18
	v_fma_f16 v2, v20, v16, v2
	v_pack_b32_f16 v3, v3, v17
	v_pack_b32_f16 v2, v18, v2
	ds_write_b32 v30, v3 offset:896
	ds_write_b32 v0, v2 offset:1344
	s_waitcnt lgkmcnt(0)
	; wave barrier
	s_waitcnt lgkmcnt(0)
	s_waitcnt lgkmcnt(0)
	; wave barrier
	s_waitcnt lgkmcnt(0)
	ds_read2_b32 v[2:3], v30 offset1:56
	ds_read2_b32 v[16:17], v30 offset0:140 offset1:196
	ds_read2_b32 v[18:19], v1 offset0:24 offset1:80
	;; [unrolled: 1-line block ×7, first 2 shown]
	s_waitcnt lgkmcnt(5)
	v_pk_add_f16 v0, v2, v18 neg_lo:[0,1] neg_hi:[0,1]
	s_waitcnt lgkmcnt(4)
	v_pk_add_f16 v9, v16, v20 neg_lo:[0,1] neg_hi:[0,1]
	v_lshrrev_b32_e32 v20, 16, v0
	s_waitcnt lgkmcnt(1)
	v_pk_add_f16 v11, v24, v26 neg_lo:[0,1] neg_hi:[0,1]
	s_waitcnt lgkmcnt(0)
	v_pk_add_f16 v18, v22, v28 neg_lo:[0,1] neg_hi:[0,1]
	v_lshrrev_b32_e32 v26, 16, v11
	v_sub_f16_sdwa v28, v0, v9 dst_sel:DWORD dst_unused:UNUSED_PAD src0_sel:DWORD src1_sel:WORD_1
	v_sub_f16_sdwa v31, v11, v18 dst_sel:DWORD dst_unused:UNUSED_PAD src0_sel:DWORD src1_sel:WORD_1
	v_pk_fma_f16 v2, v2, 2.0, v0 op_sel_hi:[1,0,1] neg_lo:[0,0,1] neg_hi:[0,0,1]
	v_pk_fma_f16 v16, v16, 2.0, v9 op_sel_hi:[1,0,1] neg_lo:[0,0,1] neg_hi:[0,0,1]
	;; [unrolled: 1-line block ×4, first 2 shown]
	v_add_f16_e32 v9, v20, v9
	v_add_f16_e32 v18, v26, v18
	v_fma_f16 v0, v0, 2.0, -v28
	v_fma_f16 v11, v11, 2.0, -v31
	;; [unrolled: 1-line block ×4, first 2 shown]
	v_fma_f16 v32, v11, s0, v0
	v_fma_f16 v32, v26, s0, v32
	;; [unrolled: 1-line block ×4, first 2 shown]
	v_fma_f16 v0, v0, 2.0, -v32
	v_fma_f16 v11, v20, 2.0, -v26
	v_pk_add_f16 v20, v2, v16 neg_lo:[0,1] neg_hi:[0,1]
	v_pk_add_f16 v22, v24, v22 neg_lo:[0,1] neg_hi:[0,1]
	v_pack_b32_f16 v0, v0, v11
	v_pk_fma_f16 v2, v2, 2.0, v20 op_sel_hi:[1,0,1] neg_lo:[0,0,1] neg_hi:[0,0,1]
	v_pk_fma_f16 v11, v24, 2.0, v22 op_sel_hi:[1,0,1] neg_lo:[0,0,1] neg_hi:[0,0,1]
	v_pk_add_f16 v24, v2, v11 neg_lo:[0,1] neg_hi:[0,1]
	v_pk_fma_f16 v2, v2, 2.0, v24 op_sel_hi:[1,0,1] neg_lo:[0,0,1] neg_hi:[0,0,1]
	s_waitcnt lgkmcnt(0)
	; wave barrier
	ds_write2_b32 v33, v2, v0 offset1:1
	v_fma_f16 v0, v18, s1, v9
	v_fma_f16 v11, v31, s1, v0
	;; [unrolled: 1-line block ×4, first 2 shown]
	v_fma_f16 v0, v28, 2.0, -v16
	v_fma_f16 v2, v9, 2.0, -v11
	v_lshrrev_b32_e32 v9, 16, v20
	v_pack_b32_f16 v0, v0, v2
	v_sub_f16_sdwa v2, v20, v22 dst_sel:DWORD dst_unused:UNUSED_PAD src0_sel:DWORD src1_sel:WORD_1
	v_add_f16_e32 v18, v9, v22
	v_fma_f16 v20, v20, 2.0, -v2
	v_fma_f16 v9, v9, 2.0, -v18
	v_pack_b32_f16 v9, v20, v9
	ds_write2_b32 v33, v9, v0 offset0:2 offset1:3
	v_pack_b32_f16 v0, v32, v26
	ds_write2_b32 v33, v24, v0 offset0:4 offset1:5
	v_pk_add_f16 v0, v3, v19 neg_lo:[0,1] neg_hi:[0,1]
	v_pk_add_f16 v9, v17, v21 neg_lo:[0,1] neg_hi:[0,1]
	v_pk_fma_f16 v3, v3, 2.0, v0 op_sel_hi:[1,0,1] neg_lo:[0,0,1] neg_hi:[0,0,1]
	v_pk_fma_f16 v17, v17, 2.0, v9 op_sel_hi:[1,0,1] neg_lo:[0,0,1] neg_hi:[0,0,1]
	v_pk_add_f16 v20, v25, v27 neg_lo:[0,1] neg_hi:[0,1]
	v_pk_add_f16 v21, v23, v29 neg_lo:[0,1] neg_hi:[0,1]
	v_pk_fma_f16 v19, v25, 2.0, v20 op_sel_hi:[1,0,1] neg_lo:[0,0,1] neg_hi:[0,0,1]
	v_pk_fma_f16 v22, v23, 2.0, v21 op_sel_hi:[1,0,1] neg_lo:[0,0,1] neg_hi:[0,0,1]
	v_pk_add_f16 v23, v3, v17 neg_lo:[0,1] neg_hi:[0,1]
	v_pack_b32_f16 v2, v2, v18
	v_pack_b32_f16 v17, v16, v11
	ds_write2_b32 v33, v2, v17 offset0:6 offset1:7
	v_sub_f16_sdwa v18, v0, v9 dst_sel:DWORD dst_unused:UNUSED_PAD src0_sel:DWORD src1_sel:WORD_1
	v_lshrrev_b32_e32 v2, 16, v0
	v_pk_add_f16 v22, v19, v22 neg_lo:[0,1] neg_hi:[0,1]
	v_pk_fma_f16 v3, v3, 2.0, v23 op_sel_hi:[1,0,1] neg_lo:[0,0,1] neg_hi:[0,0,1]
	v_add_f16_e32 v9, v2, v9
	v_fma_f16 v24, v0, 2.0, -v18
	v_pk_fma_f16 v0, v19, 2.0, v22 op_sel_hi:[1,0,1] neg_lo:[0,0,1] neg_hi:[0,0,1]
	v_fma_f16 v25, v2, 2.0, -v9
	v_pk_add_f16 v19, v3, v0 neg_lo:[0,1] neg_hi:[0,1]
	v_sub_f16_sdwa v2, v20, v21 dst_sel:DWORD dst_unused:UNUSED_PAD src0_sel:DWORD src1_sel:WORD_1
	v_lshrrev_b32_e32 v0, 16, v20
	v_pk_fma_f16 v17, v3, 2.0, v19 op_sel_hi:[1,0,1] neg_lo:[0,0,1] neg_hi:[0,0,1]
	v_add_f16_e32 v3, v0, v21
	v_fma_f16 v20, v20, 2.0, -v2
	v_fma_f16 v0, v0, 2.0, -v3
	v_fma_f16 v21, v20, s0, v24
	v_fma_f16 v31, v0, s0, v21
	;; [unrolled: 1-line block ×8, first 2 shown]
	v_sub_f16_sdwa v3, v23, v22 dst_sel:DWORD dst_unused:UNUSED_PAD src0_sel:DWORD src1_sel:WORD_1
	v_fma_f16 v21, v23, 2.0, -v3
	v_lshrrev_b32_e32 v23, 16, v23
	v_add_f16_e32 v22, v23, v22
	v_fma_f16 v18, v18, 2.0, -v0
	v_fma_f16 v32, v25, 2.0, -v33
	;; [unrolled: 1-line block ×5, first 2 shown]
	v_cmp_gt_u32_e64 s[0:1], 14, v8
	v_add_u32_e32 v9, 56, v8
	s_and_saveexec_b64 s[4:5], s[0:1]
	s_cbranch_execz .LBB0_21
; %bb.20:
	s_mov_b32 s0, 0x5040100
	v_lshl_add_u32 v23, v9, 5, 0
	v_perm_b32 v24, v32, v20, s0
	ds_write2_b32 v23, v17, v24 offset1:1
	v_perm_b32 v24, v34, v18, s0
	v_perm_b32 v25, v35, v21, s0
	ds_write2_b32 v23, v25, v24 offset0:2 offset1:3
	v_perm_b32 v24, v33, v31, s0
	v_perm_b32 v0, v2, v0, s0
	;; [unrolled: 1-line block ×3, first 2 shown]
	ds_write2_b32 v23, v19, v24 offset0:4 offset1:5
	ds_write2_b32 v23, v2, v0 offset0:6 offset1:7
.LBB0_21:
	s_or_b64 exec, exec, s[4:5]
	s_waitcnt lgkmcnt(0)
	; wave barrier
	s_waitcnt lgkmcnt(0)
	ds_read2_b32 v[22:23], v30 offset1:80
	ds_read2_b32 v[28:29], v30 offset0:160 offset1:240
	ds_read2_b32 v[26:27], v1 offset0:64 offset1:144
	ds_read_b32 v38, v30 offset:1920
	v_cmp_gt_u32_e64 s[0:1], 24, v8
	v_lshrrev_b32_e32 v37, 16, v17
	s_and_saveexec_b64 s[4:5], s[0:1]
	s_cbranch_execz .LBB0_23
; %bb.22:
	v_add_u32_e32 v0, 0x400, v30
	ds_read2_b32 v[16:17], v30 offset0:56 offset1:136
	ds_read2_b32 v[18:19], v0 offset0:120 offset1:200
	ds_read_b32 v31, v30 offset:2144
	v_add_u32_e32 v0, 0x200, v30
	ds_read2_b32 v[20:21], v0 offset0:88 offset1:168
	s_waitcnt lgkmcnt(3)
	v_lshrrev_b32_e32 v11, 16, v16
	s_waitcnt lgkmcnt(2)
	v_lshrrev_b32_e32 v34, 16, v18
	;; [unrolled: 2-line block ×3, first 2 shown]
	v_lshrrev_b32_e32 v37, 16, v17
	s_waitcnt lgkmcnt(0)
	v_lshrrev_b32_e32 v32, 16, v20
	v_lshrrev_b32_e32 v35, 16, v21
.LBB0_23:
	s_or_b64 exec, exec, s[4:5]
	v_and_b32_e32 v36, 7, v8
	v_mul_u32_u24_e32 v0, 6, v36
	v_lshlrev_b32_e32 v39, 2, v0
	global_load_dwordx4 v[0:3], v39, s[12:13]
	global_load_dwordx2 v[24:25], v39, s[12:13] offset:16
	s_waitcnt lgkmcnt(3)
	v_lshrrev_b32_e32 v39, 16, v23
	s_waitcnt lgkmcnt(2)
	v_lshrrev_b32_e32 v40, 16, v28
	;; [unrolled: 2-line block ×4, first 2 shown]
	v_lshrrev_b32_e32 v41, 16, v29
	v_lshrrev_b32_e32 v42, 16, v26
	s_movk_i32 s9, 0x2b26
	s_movk_i32 s6, 0x3b00
	s_mov_b32 s14, 0xbcab
	s_movk_i32 s7, 0x39e0
	s_mov_b32 s8, 0xb9e0
	;; [unrolled: 2-line block ×3, first 2 shown]
	s_movk_i32 s16, 0x370e
	s_waitcnt lgkmcnt(0)
	; wave barrier
	s_waitcnt vmcnt(1)
	v_mul_f16_sdwa v45, v0, v39 dst_sel:DWORD dst_unused:UNUSED_PAD src0_sel:WORD_1 src1_sel:DWORD
	v_mul_f16_sdwa v46, v0, v23 dst_sel:DWORD dst_unused:UNUSED_PAD src0_sel:WORD_1 src1_sel:DWORD
	v_mul_f16_sdwa v47, v1, v40 dst_sel:DWORD dst_unused:UNUSED_PAD src0_sel:WORD_1 src1_sel:DWORD
	v_mul_f16_sdwa v48, v1, v28 dst_sel:DWORD dst_unused:UNUSED_PAD src0_sel:WORD_1 src1_sel:DWORD
	s_waitcnt vmcnt(0)
	v_mul_f16_sdwa v53, v24, v43 dst_sel:DWORD dst_unused:UNUSED_PAD src0_sel:WORD_1 src1_sel:DWORD
	v_mul_f16_sdwa v54, v24, v27 dst_sel:DWORD dst_unused:UNUSED_PAD src0_sel:WORD_1 src1_sel:DWORD
	;; [unrolled: 1-line block ×8, first 2 shown]
	v_fma_f16 v23, v0, v23, -v45
	v_fma_f16 v39, v0, v39, v46
	v_fma_f16 v28, v1, v28, -v47
	v_fma_f16 v40, v1, v40, v48
	;; [unrolled: 2-line block ×6, first 2 shown]
	v_add_f16_e32 v45, v23, v38
	v_add_f16_e32 v46, v39, v44
	v_sub_f16_e32 v23, v23, v38
	v_sub_f16_e32 v38, v39, v44
	v_add_f16_e32 v39, v28, v27
	v_add_f16_e32 v44, v40, v43
	v_sub_f16_e32 v27, v28, v27
	v_sub_f16_e32 v28, v40, v43
	;; [unrolled: 4-line block ×4, first 2 shown]
	v_sub_f16_e32 v45, v45, v40
	v_sub_f16_e32 v46, v46, v43
	;; [unrolled: 1-line block ×4, first 2 shown]
	v_add_f16_e32 v49, v26, v27
	v_sub_f16_e32 v51, v26, v27
	v_sub_f16_e32 v27, v27, v23
	v_add_f16_e32 v40, v40, v41
	v_add_f16_e32 v41, v43, v42
	;; [unrolled: 1-line block ×3, first 2 shown]
	v_sub_f16_e32 v52, v29, v28
	v_sub_f16_e32 v26, v23, v26
	v_add_f16_e32 v23, v49, v23
	v_mul_f16_e32 v42, 0x3a52, v45
	v_mul_f16_e32 v43, 0x3a52, v46
	;; [unrolled: 1-line block ×6, first 2 shown]
	v_add_f16_e32 v53, v40, v22
	v_add_f16_sdwa v22, v41, v22 dst_sel:DWORD dst_unused:UNUSED_PAD src0_sel:DWORD src1_sel:WORD_1
	v_sub_f16_e32 v29, v38, v29
	v_sub_f16_e32 v28, v28, v38
	v_add_f16_e32 v38, v50, v38
	v_mul_f16_e32 v50, 0xb846, v52
	v_fma_f16 v39, v39, s9, v42
	v_fma_f16 v44, v44, s9, v43
	v_fma_f16 v45, v47, s7, -v45
	v_fma_f16 v46, v48, s7, -v46
	;; [unrolled: 1-line block ×4, first 2 shown]
	v_fma_f16 v40, v40, s14, v53
	v_fma_f16 v41, v41, s14, v22
	;; [unrolled: 1-line block ×3, first 2 shown]
	v_fma_f16 v27, v27, s6, -v49
	v_fma_f16 v26, v26, s15, -v51
	v_fma_f16 v48, v29, s17, v50
	v_add_f16_e32 v39, v39, v40
	v_add_f16_e32 v44, v44, v41
	;; [unrolled: 1-line block ×6, first 2 shown]
	v_fma_f16 v42, v23, s16, v47
	v_fma_f16 v27, v23, s16, v27
	;; [unrolled: 1-line block ×3, first 2 shown]
	v_mul_f16_e32 v52, 0x3b00, v28
	v_fma_f16 v43, v38, s16, v48
	v_sub_f16_e32 v48, v41, v23
	v_add_f16_e32 v23, v23, v41
	v_lshrrev_b32_e32 v41, 3, v8
	v_fma_f16 v28, v28, s6, -v50
	v_fma_f16 v29, v29, s15, -v52
	v_mul_u32_u24_e32 v41, 56, v41
	v_fma_f16 v28, v38, s16, v28
	v_fma_f16 v26, v38, s16, v29
	v_add_f16_e32 v29, v43, v39
	v_sub_f16_e32 v38, v44, v42
	v_or_b32_e32 v41, v41, v36
	v_add_f16_e32 v47, v26, v40
	v_sub_f16_e32 v49, v45, v28
	v_add_f16_e32 v50, v27, v46
	v_lshl_add_u32 v41, v41, 2, 0
	v_pack_b32_f16 v22, v53, v22
	v_pack_b32_f16 v29, v29, v38
	v_add_f16_e32 v28, v28, v45
	v_sub_f16_e32 v27, v46, v27
	v_sub_f16_e32 v26, v40, v26
	ds_write2_b32 v41, v22, v29 offset1:8
	v_pack_b32_f16 v22, v47, v48
	v_pack_b32_f16 v29, v49, v50
	v_sub_f16_e32 v39, v39, v43
	v_add_f16_e32 v40, v42, v44
	ds_write2_b32 v41, v22, v29 offset0:16 offset1:24
	v_pack_b32_f16 v22, v28, v27
	v_pack_b32_f16 v23, v26, v23
	ds_write2_b32 v41, v22, v23 offset0:32 offset1:40
	v_pack_b32_f16 v22, v39, v40
	ds_write_b32 v41, v22 offset:192
	s_and_saveexec_b64 s[4:5], s[0:1]
	s_cbranch_execz .LBB0_25
; %bb.24:
	v_lshrrev_b32_e32 v40, 16, v19
	v_mul_f16_sdwa v22, v37, v0 dst_sel:DWORD dst_unused:UNUSED_PAD src0_sel:DWORD src1_sel:WORD_1
	v_mul_f16_sdwa v23, v33, v25 dst_sel:DWORD dst_unused:UNUSED_PAD src0_sel:DWORD src1_sel:WORD_1
	;; [unrolled: 1-line block ×6, first 2 shown]
	v_fma_f16 v22, v17, v0, -v22
	v_fma_f16 v23, v31, v25, -v23
	;; [unrolled: 1-line block ×6, first 2 shown]
	v_mul_f16_sdwa v31, v31, v25 dst_sel:DWORD dst_unused:UNUSED_PAD src0_sel:DWORD src1_sel:WORD_1
	v_mul_f16_sdwa v17, v17, v0 dst_sel:DWORD dst_unused:UNUSED_PAD src0_sel:DWORD src1_sel:WORD_1
	v_mul_f16_sdwa v21, v21, v2 dst_sel:DWORD dst_unused:UNUSED_PAD src0_sel:DWORD src1_sel:WORD_1
	v_mul_f16_sdwa v18, v18, v3 dst_sel:DWORD dst_unused:UNUSED_PAD src0_sel:DWORD src1_sel:WORD_1
	v_mul_f16_sdwa v19, v19, v24 dst_sel:DWORD dst_unused:UNUSED_PAD src0_sel:DWORD src1_sel:WORD_1
	v_mul_f16_sdwa v20, v20, v1 dst_sel:DWORD dst_unused:UNUSED_PAD src0_sel:DWORD src1_sel:WORD_1
	v_fma_f16 v25, v33, v25, v31
	v_fma_f16 v0, v37, v0, v17
	;; [unrolled: 1-line block ×6, first 2 shown]
	v_add_f16_e32 v17, v0, v25
	v_add_f16_e32 v18, v2, v3
	;; [unrolled: 1-line block ×3, first 2 shown]
	v_sub_f16_e32 v0, v0, v25
	v_sub_f16_e32 v2, v3, v2
	;; [unrolled: 1-line block ×6, first 2 shown]
	v_add_f16_e32 v32, v20, v17
	v_add_f16_e32 v22, v22, v23
	;; [unrolled: 1-line block ×4, first 2 shown]
	v_sub_f16_e32 v3, v0, v2
	v_sub_f16_e32 v19, v2, v1
	v_add_f16_e32 v2, v2, v1
	v_sub_f16_e32 v38, v26, v29
	v_sub_f16_e32 v43, v29, v42
	v_add_f16_e32 v29, v29, v42
	;; [unrolled: 3-line block ×3, first 2 shown]
	v_add_f16_e32 v35, v28, v22
	v_add_f16_e32 v2, v2, v0
	v_sub_f16_e32 v0, v1, v0
	v_add_f16_e32 v29, v29, v26
	v_mul_f16_e32 v21, 0x3a52, v21
	v_mul_f16_e32 v31, 0x2b26, v24
	v_add_f16_e32 v11, v11, v18
	v_sub_f16_e32 v27, v22, v23
	v_sub_f16_e32 v33, v23, v28
	v_add_f16_e32 v23, v23, v35
	v_mul_f16_e32 v19, 0xb846, v19
	v_sub_f16_e32 v26, v42, v26
	v_sub_f16_e32 v17, v20, v17
	v_mul_f16_e32 v1, 0x3b00, v0
	v_mul_f16_e32 v43, 0xb846, v43
	v_fma_f16 v24, v24, s9, v21
	v_fma_f16 v18, v18, s14, v11
	v_mul_f16_e32 v27, 0x3a52, v27
	v_mul_f16_e32 v34, 0x2b26, v33
	v_add_f16_e32 v16, v16, v23
	v_fma_f16 v25, v3, s17, v19
	v_mul_f16_e32 v37, 0x3b00, v26
	v_fma_f16 v20, v17, s8, -v21
	v_sub_f16_e32 v22, v28, v22
	v_fma_f16 v1, v3, s15, -v1
	v_fma_f16 v17, v17, s7, -v31
	;; [unrolled: 1-line block ×3, first 2 shown]
	v_add_f16_e32 v24, v24, v18
	v_fma_f16 v33, v33, s9, v27
	v_fma_f16 v23, v23, s14, v16
	v_fma_f16 v25, v2, s16, v25
	v_fma_f16 v37, v38, s15, -v37
	v_add_f16_e32 v20, v20, v18
	v_fma_f16 v27, v22, s8, -v27
	v_fma_f16 v1, v2, s16, v1
	v_add_f16_e32 v17, v17, v18
	v_fma_f16 v18, v26, s6, -v43
	v_fma_f16 v0, v2, s16, v0
	v_fma_f16 v2, v22, s7, -v34
	v_lshrrev_b32_e32 v9, 3, v9
	v_fma_f16 v37, v29, s16, v37
	v_add_f16_e32 v27, v27, v23
	v_fma_f16 v18, v29, s16, v18
	v_add_f16_e32 v2, v2, v23
	v_mul_u32_u24_e32 v9, 56, v9
	v_fma_f16 v44, v38, s17, v43
	v_sub_f16_e32 v3, v27, v1
	v_sub_f16_e32 v26, v17, v18
	v_add_f16_e32 v19, v0, v2
	v_add_f16_e32 v17, v18, v17
	v_sub_f16_e32 v0, v2, v0
	v_sub_f16_e32 v2, v20, v37
	v_add_f16_e32 v1, v1, v27
	v_or_b32_e32 v9, v9, v36
	v_fma_f16 v44, v29, s16, v44
	v_add_f16_e32 v33, v33, v23
	v_add_f16_e32 v21, v37, v20
	v_lshl_add_u32 v9, v9, 2, 0
	v_pack_b32_f16 v1, v1, v2
	v_pack_b32_f16 v0, v0, v17
	v_add_f16_e32 v32, v44, v24
	v_sub_f16_e32 v35, v33, v25
	v_sub_f16_e32 v18, v24, v44
	v_add_f16_e32 v20, v25, v33
	ds_write2_b32 v9, v1, v0 offset0:16 offset1:24
	v_pack_b32_f16 v0, v19, v26
	v_pack_b32_f16 v1, v3, v21
	;; [unrolled: 1-line block ×4, first 2 shown]
	ds_write2_b32 v9, v0, v1 offset0:32 offset1:40
	v_pack_b32_f16 v0, v35, v32
	ds_write2_b32 v9, v11, v16 offset1:8
	ds_write_b32 v9, v0 offset:192
.LBB0_25:
	s_or_b64 exec, exec, s[4:5]
	v_mov_b32_e32 v11, 0
	v_lshlrev_b64 v[0:1], 2, v[10:11]
	v_mov_b32_e32 v24, s13
	v_add_co_u32_e64 v0, s[0:1], s12, v0
	v_addc_co_u32_e64 v1, s[0:1], v24, v1, s[0:1]
	s_waitcnt lgkmcnt(0)
	; wave barrier
	s_waitcnt lgkmcnt(0)
	global_load_dwordx4 v[0:3], v[0:1], off offset:192
	v_add_u32_e32 v25, 0x200, v30
	ds_read2_b32 v[9:10], v30 offset1:56
	ds_read2_b32 v[16:17], v30 offset0:112 offset1:168
	v_add_u32_e32 v26, 0x400, v30
	ds_read2_b32 v[18:19], v25 offset0:96 offset1:152
	ds_read2_b32 v[20:21], v26 offset0:80 offset1:136
	;; [unrolled: 1-line block ×3, first 2 shown]
	s_movk_i32 s0, 0x3b9c
	s_mov_b32 s5, 0xbb9c
	s_waitcnt lgkmcnt(3)
	v_lshrrev_b32_e32 v29, 16, v16
	s_waitcnt lgkmcnt(2)
	v_lshrrev_b32_e32 v35, 16, v18
	;; [unrolled: 2-line block ×4, first 2 shown]
	v_lshrrev_b32_e32 v32, 16, v19
	v_lshrrev_b32_e32 v31, 16, v17
	;; [unrolled: 1-line block ×5, first 2 shown]
	s_movk_i32 s1, 0x38b4
	s_mov_b32 s6, 0xb8b4
	s_movk_i32 s4, 0x34f2
	v_lshrrev_b32_e32 v28, 16, v10
	s_waitcnt lgkmcnt(0)
	; wave barrier
	s_waitcnt vmcnt(0)
	v_mul_f16_sdwa v38, v0, v29 dst_sel:DWORD dst_unused:UNUSED_PAD src0_sel:WORD_1 src1_sel:DWORD
	v_mul_f16_sdwa v40, v1, v35 dst_sel:DWORD dst_unused:UNUSED_PAD src0_sel:WORD_1 src1_sel:DWORD
	;; [unrolled: 1-line block ×8, first 2 shown]
	v_mul_f16_sdwa v48, v32, v1 dst_sel:DWORD dst_unused:UNUSED_PAD src0_sel:DWORD src1_sel:WORD_1
	v_mul_f16_sdwa v49, v19, v1 dst_sel:DWORD dst_unused:UNUSED_PAD src0_sel:DWORD src1_sel:WORD_1
	v_fma_f16 v16, v0, v16, -v38
	v_fma_f16 v18, v1, v18, -v40
	;; [unrolled: 1-line block ×4, first 2 shown]
	v_mul_f16_sdwa v46, v0, v31 dst_sel:DWORD dst_unused:UNUSED_PAD src0_sel:WORD_1 src1_sel:DWORD
	v_mul_f16_sdwa v47, v0, v17 dst_sel:DWORD dst_unused:UNUSED_PAD src0_sel:WORD_1 src1_sel:DWORD
	v_mul_f16_sdwa v50, v33, v2 dst_sel:DWORD dst_unused:UNUSED_PAD src0_sel:DWORD src1_sel:WORD_1
	v_mul_f16_sdwa v51, v21, v2 dst_sel:DWORD dst_unused:UNUSED_PAD src0_sel:DWORD src1_sel:WORD_1
	;; [unrolled: 1-line block ×4, first 2 shown]
	v_fma_f16 v29, v0, v29, v39
	v_fma_f16 v35, v1, v35, v41
	;; [unrolled: 1-line block ×4, first 2 shown]
	v_fma_f16 v19, v19, v1, -v48
	v_fma_f16 v1, v32, v1, v49
	v_add_f16_e32 v32, v18, v20
	v_add_f16_e32 v40, v16, v22
	v_fma_f16 v17, v0, v17, -v46
	v_fma_f16 v0, v0, v31, v47
	v_fma_f16 v21, v21, v2, -v50
	v_fma_f16 v2, v33, v2, v51
	;; [unrolled: 2-line block ×3, first 2 shown]
	v_add_f16_e32 v31, v9, v16
	v_sub_f16_e32 v33, v29, v37
	v_sub_f16_e32 v34, v35, v36
	;; [unrolled: 1-line block ×6, first 2 shown]
	v_fma_f16 v32, v32, -0.5, v9
	v_fma_f16 v9, v40, -0.5, v9
	v_add_f16_e32 v38, v38, v39
	v_add_f16_e32 v39, v41, v42
	v_fma_f16 v40, v33, s0, v32
	v_fma_f16 v32, v33, s5, v32
	v_fma_f16 v41, v34, s5, v9
	v_fma_f16 v9, v34, s0, v9
	v_fma_f16 v40, v34, s1, v40
	v_fma_f16 v32, v34, s6, v32
	v_fma_f16 v34, v33, s1, v41
	v_fma_f16 v9, v33, s6, v9
	v_add_f16_e32 v31, v31, v18
	v_fma_f16 v34, v39, s4, v34
	v_fma_f16 v9, v39, s4, v9
	v_add_f16_e32 v39, v35, v36
	v_add_f16_e32 v31, v31, v20
	v_fma_f16 v39, v39, -0.5, v27
	v_sub_f16_e32 v16, v16, v22
	v_add_f16_e32 v31, v31, v22
	v_fma_f16 v22, v16, s5, v39
	v_sub_f16_e32 v18, v18, v20
	v_fma_f16 v33, v38, s4, v40
	v_fma_f16 v20, v18, s6, v22
	v_sub_f16_e32 v22, v29, v35
	v_sub_f16_e32 v40, v37, v36
	v_fma_f16 v39, v16, s0, v39
	v_add_f16_e32 v22, v22, v40
	v_fma_f16 v39, v18, s1, v39
	v_fma_f16 v20, v22, s4, v20
	;; [unrolled: 1-line block ×3, first 2 shown]
	v_add_f16_e32 v39, v29, v37
	v_fma_f16 v32, v38, s4, v32
	v_add_f16_e32 v38, v27, v29
	v_fma_f16 v27, v39, -0.5, v27
	v_add_f16_e32 v38, v38, v35
	v_fma_f16 v39, v18, s0, v27
	v_sub_f16_e32 v29, v35, v29
	v_sub_f16_e32 v35, v36, v37
	v_fma_f16 v18, v18, s5, v27
	v_fma_f16 v39, v16, s6, v39
	v_add_f16_e32 v29, v29, v35
	v_fma_f16 v16, v16, s1, v18
	v_add_f16_e32 v27, v19, v21
	v_add_f16_e32 v38, v38, v36
	v_fma_f16 v35, v29, s4, v39
	v_fma_f16 v16, v29, s4, v16
	v_fma_f16 v27, v27, -0.5, v10
	v_sub_f16_e32 v29, v0, v3
	v_add_f16_e32 v38, v38, v37
	v_fma_f16 v36, v29, s0, v27
	v_sub_f16_e32 v37, v1, v2
	v_sub_f16_e32 v39, v17, v19
	v_sub_f16_e32 v40, v23, v21
	v_fma_f16 v27, v29, s5, v27
	v_fma_f16 v36, v37, s1, v36
	v_add_f16_e32 v39, v39, v40
	v_fma_f16 v27, v37, s6, v27
	v_fma_f16 v36, v39, s4, v36
	;; [unrolled: 1-line block ×3, first 2 shown]
	v_add_f16_e32 v39, v17, v23
	v_add_f16_e32 v18, v10, v17
	v_fma_f16 v10, v39, -0.5, v10
	v_add_f16_e32 v18, v18, v19
	v_fma_f16 v39, v37, s5, v10
	v_fma_f16 v10, v37, s0, v10
	v_add_f16_e32 v37, v1, v2
	v_add_f16_e32 v18, v18, v21
	v_sub_f16_e32 v40, v19, v17
	v_sub_f16_e32 v41, v21, v23
	v_fma_f16 v37, v37, -0.5, v28
	v_sub_f16_e32 v17, v17, v23
	v_add_f16_e32 v18, v18, v23
	v_fma_f16 v39, v29, s1, v39
	v_add_f16_e32 v40, v40, v41
	v_fma_f16 v10, v29, s6, v10
	v_fma_f16 v23, v17, s5, v37
	v_sub_f16_e32 v19, v19, v21
	v_fma_f16 v39, v40, s4, v39
	v_fma_f16 v10, v40, s4, v10
	;; [unrolled: 1-line block ×3, first 2 shown]
	v_sub_f16_e32 v23, v0, v1
	v_sub_f16_e32 v40, v3, v2
	v_fma_f16 v37, v17, s0, v37
	v_add_f16_e32 v23, v23, v40
	v_fma_f16 v37, v19, s1, v37
	v_add_f16_e32 v29, v28, v0
	v_fma_f16 v21, v23, s4, v21
	v_fma_f16 v23, v23, s4, v37
	v_add_f16_e32 v37, v0, v3
	v_add_f16_e32 v29, v29, v1
	v_fma_f16 v28, v37, -0.5, v28
	v_add_f16_e32 v29, v29, v2
	v_fma_f16 v37, v19, s0, v28
	v_sub_f16_e32 v0, v1, v0
	v_sub_f16_e32 v1, v2, v3
	v_fma_f16 v2, v19, s5, v28
	v_fma_f16 v37, v17, s6, v37
	v_add_f16_e32 v0, v0, v1
	v_fma_f16 v2, v17, s1, v2
	v_add_f16_e32 v29, v29, v3
	v_fma_f16 v1, v0, s4, v37
	v_fma_f16 v0, v0, s4, v2
	v_pack_b32_f16 v2, v31, v38
	v_pack_b32_f16 v3, v33, v20
	ds_write2_b32 v30, v2, v3 offset1:56
	v_pack_b32_f16 v2, v34, v35
	v_pack_b32_f16 v3, v9, v16
	ds_write2_b32 v30, v2, v3 offset0:112 offset1:168
	v_pack_b32_f16 v2, v32, v22
	v_pack_b32_f16 v3, v18, v29
	ds_write2_b32 v25, v2, v3 offset0:96 offset1:152
	;; [unrolled: 3-line block ×4, first 2 shown]
	v_add_co_u32_e64 v0, s[0:1], s12, v12
	v_addc_co_u32_e64 v1, s[0:1], v24, v13, s[0:1]
	s_waitcnt lgkmcnt(0)
	; wave barrier
	s_waitcnt lgkmcnt(0)
	global_load_dword v16, v[0:1], off offset:1088
	v_add_co_u32_e64 v0, s[0:1], s12, v14
	v_addc_co_u32_e64 v1, s[0:1], v24, v15, s[0:1]
	global_load_dword v17, v[0:1], off offset:1312
	global_load_dword v18, v[0:1], off offset:1536
	;; [unrolled: 1-line block ×4, first 2 shown]
	ds_read2_b32 v[0:1], v25 offset0:96 offset1:152
	ds_read2_b32 v[2:3], v30 offset1:56
	ds_read2_b32 v[9:10], v26 offset0:80 offset1:136
	ds_read2_b32 v[12:13], v30 offset0:112 offset1:168
	;; [unrolled: 1-line block ×3, first 2 shown]
	s_mov_b32 s0, 0xffff
	s_waitcnt lgkmcnt(0)
	; wave barrier
	s_waitcnt vmcnt(4) lgkmcnt(0)
	v_pk_mul_f16 v21, v16, v1 op_sel:[0,1]
	v_pk_fma_f16 v22, v16, v1, v21 op_sel:[0,0,1] op_sel_hi:[1,1,0] neg_lo:[0,0,1] neg_hi:[0,0,1]
	v_pk_fma_f16 v1, v16, v1, v21 op_sel:[0,0,1] op_sel_hi:[1,0,0]
	s_waitcnt vmcnt(3)
	v_pk_mul_f16 v16, v17, v9 op_sel:[0,1]
	v_pk_fma_f16 v21, v17, v9, v16 op_sel:[0,0,1] op_sel_hi:[1,1,0] neg_lo:[0,0,1] neg_hi:[0,0,1]
	v_pk_fma_f16 v9, v17, v9, v16 op_sel:[0,0,1] op_sel_hi:[1,0,0]
	s_waitcnt vmcnt(2)
	;; [unrolled: 4-line block ×3, first 2 shown]
	v_pk_mul_f16 v16, v19, v14 op_sel:[0,1]
	v_bfi_b32 v10, s0, v17, v10
	v_pk_fma_f16 v17, v19, v14, v16 op_sel:[0,0,1] op_sel_hi:[1,1,0] neg_lo:[0,0,1] neg_hi:[0,0,1]
	v_pk_fma_f16 v14, v19, v14, v16 op_sel:[0,0,1] op_sel_hi:[1,0,0]
	s_waitcnt vmcnt(0)
	v_pk_mul_f16 v16, v20, v15 op_sel:[0,1]
	v_bfi_b32 v1, s0, v22, v1
	v_bfi_b32 v9, s0, v21, v9
	;; [unrolled: 1-line block ×3, first 2 shown]
	v_pk_fma_f16 v17, v20, v15, v16 op_sel:[0,0,1] op_sel_hi:[1,1,0] neg_lo:[0,0,1] neg_hi:[0,0,1]
	v_pk_fma_f16 v15, v20, v15, v16 op_sel:[0,0,1] op_sel_hi:[1,0,0]
	v_pk_add_f16 v1, v2, v1 neg_lo:[0,1] neg_hi:[0,1]
	v_pk_add_f16 v9, v3, v9 neg_lo:[0,1] neg_hi:[0,1]
	v_bfi_b32 v15, s0, v17, v15
	v_pk_fma_f16 v2, v2, 2.0, v1 op_sel_hi:[1,0,1] neg_lo:[0,0,1] neg_hi:[0,0,1]
	v_pk_fma_f16 v3, v3, 2.0, v9 op_sel_hi:[1,0,1] neg_lo:[0,0,1] neg_hi:[0,0,1]
	v_pk_add_f16 v10, v12, v10 neg_lo:[0,1] neg_hi:[0,1]
	v_pk_add_f16 v14, v13, v14 neg_lo:[0,1] neg_hi:[0,1]
	;; [unrolled: 1-line block ×3, first 2 shown]
	v_pk_fma_f16 v12, v12, 2.0, v10 op_sel_hi:[1,0,1] neg_lo:[0,0,1] neg_hi:[0,0,1]
	v_pk_fma_f16 v13, v13, 2.0, v14 op_sel_hi:[1,0,1] neg_lo:[0,0,1] neg_hi:[0,0,1]
	;; [unrolled: 1-line block ×3, first 2 shown]
	ds_write2_b32 v30, v2, v3 offset1:56
	ds_write2_b32 v26, v9, v10 offset0:80 offset1:136
	ds_write2_b32 v30, v12, v13 offset0:112 offset1:168
	;; [unrolled: 1-line block ×4, first 2 shown]
	s_waitcnt lgkmcnt(0)
	; wave barrier
	s_waitcnt lgkmcnt(0)
	s_and_saveexec_b64 s[0:1], vcc
	s_cbranch_execz .LBB0_27
; %bb.26:
	v_mul_lo_u32 v2, s3, v6
	v_mul_lo_u32 v3, s2, v7
	v_mad_u64_u32 v[0:1], s[0:1], s2, v6, 0
	v_mov_b32_e32 v7, s11
	v_lshl_add_u32 v6, v8, 2, 0
	v_add3_u32 v1, v1, v3, v2
	v_lshlrev_b64 v[0:1], 2, v[0:1]
	v_mov_b32_e32 v9, v11
	v_add_co_u32_e32 v10, vcc, s10, v0
	v_addc_co_u32_e32 v7, vcc, v7, v1, vcc
	v_lshlrev_b64 v[0:1], 2, v[4:5]
	ds_read2_b32 v[2:3], v6 offset1:56
	v_add_co_u32_e32 v4, vcc, v10, v0
	v_addc_co_u32_e32 v5, vcc, v7, v1, vcc
	v_lshlrev_b64 v[0:1], 2, v[8:9]
	v_add_u32_e32 v10, 56, v8
	v_add_co_u32_e32 v0, vcc, v4, v0
	v_addc_co_u32_e32 v1, vcc, v5, v1, vcc
	s_waitcnt lgkmcnt(0)
	global_store_dword v[0:1], v2, off
	v_lshlrev_b64 v[0:1], 2, v[10:11]
	v_add_u32_e32 v10, 0x70, v8
	v_add_co_u32_e32 v0, vcc, v4, v0
	v_addc_co_u32_e32 v1, vcc, v5, v1, vcc
	global_store_dword v[0:1], v3, off
	ds_read2_b32 v[0:1], v6 offset0:112 offset1:168
	v_lshlrev_b64 v[2:3], 2, v[10:11]
	v_add_u32_e32 v10, 0xa8, v8
	v_add_co_u32_e32 v2, vcc, v4, v2
	v_addc_co_u32_e32 v3, vcc, v5, v3, vcc
	s_waitcnt lgkmcnt(0)
	global_store_dword v[2:3], v0, off
	v_lshlrev_b64 v[2:3], 2, v[10:11]
	v_add_u32_e32 v0, 0x200, v6
	v_add_co_u32_e32 v2, vcc, v4, v2
	v_addc_co_u32_e32 v3, vcc, v5, v3, vcc
	global_store_dword v[2:3], v1, off
	v_add_u32_e32 v10, 0xe0, v8
	ds_read2_b32 v[0:1], v0 offset0:96 offset1:152
	v_lshlrev_b64 v[2:3], 2, v[10:11]
	v_add_u32_e32 v10, 0x118, v8
	v_add_co_u32_e32 v2, vcc, v4, v2
	v_addc_co_u32_e32 v3, vcc, v5, v3, vcc
	s_waitcnt lgkmcnt(0)
	global_store_dword v[2:3], v0, off
	v_lshlrev_b64 v[2:3], 2, v[10:11]
	v_add_u32_e32 v6, 0x400, v6
	v_add_co_u32_e32 v2, vcc, v4, v2
	v_addc_co_u32_e32 v3, vcc, v5, v3, vcc
	global_store_dword v[2:3], v1, off
	v_add_u32_e32 v10, 0x150, v8
	ds_read2_b32 v[0:1], v6 offset0:80 offset1:136
	v_lshlrev_b64 v[2:3], 2, v[10:11]
	v_add_u32_e32 v10, 0x188, v8
	v_add_co_u32_e32 v2, vcc, v4, v2
	v_addc_co_u32_e32 v3, vcc, v5, v3, vcc
	s_waitcnt lgkmcnt(0)
	global_store_dword v[2:3], v0, off
	v_lshlrev_b64 v[2:3], 2, v[10:11]
	v_add_u32_e32 v10, 0x1c0, v8
	v_add_co_u32_e32 v2, vcc, v4, v2
	v_addc_co_u32_e32 v3, vcc, v5, v3, vcc
	global_store_dword v[2:3], v1, off
	ds_read2_b32 v[0:1], v6 offset0:192 offset1:248
	v_lshlrev_b64 v[2:3], 2, v[10:11]
	v_add_u32_e32 v10, 0x1f8, v8
	v_add_co_u32_e32 v2, vcc, v4, v2
	v_addc_co_u32_e32 v3, vcc, v5, v3, vcc
	s_waitcnt lgkmcnt(0)
	global_store_dword v[2:3], v0, off
	v_lshlrev_b64 v[2:3], 2, v[10:11]
	v_add_co_u32_e32 v2, vcc, v4, v2
	v_addc_co_u32_e32 v3, vcc, v5, v3, vcc
	global_store_dword v[2:3], v1, off
.LBB0_27:
	s_endpgm
	.section	.rodata,"a",@progbits
	.p2align	6, 0x0
	.amdhsa_kernel fft_rtc_fwd_len560_factors_8_7_5_2_wgs_56_tpt_56_half_op_CI_CI_unitstride_sbrr_C2R_dirReg
		.amdhsa_group_segment_fixed_size 0
		.amdhsa_private_segment_fixed_size 0
		.amdhsa_kernarg_size 104
		.amdhsa_user_sgpr_count 6
		.amdhsa_user_sgpr_private_segment_buffer 1
		.amdhsa_user_sgpr_dispatch_ptr 0
		.amdhsa_user_sgpr_queue_ptr 0
		.amdhsa_user_sgpr_kernarg_segment_ptr 1
		.amdhsa_user_sgpr_dispatch_id 0
		.amdhsa_user_sgpr_flat_scratch_init 0
		.amdhsa_user_sgpr_private_segment_size 0
		.amdhsa_uses_dynamic_stack 0
		.amdhsa_system_sgpr_private_segment_wavefront_offset 0
		.amdhsa_system_sgpr_workgroup_id_x 1
		.amdhsa_system_sgpr_workgroup_id_y 0
		.amdhsa_system_sgpr_workgroup_id_z 0
		.amdhsa_system_sgpr_workgroup_info 0
		.amdhsa_system_vgpr_workitem_id 0
		.amdhsa_next_free_vgpr 57
		.amdhsa_next_free_sgpr 28
		.amdhsa_reserve_vcc 1
		.amdhsa_reserve_flat_scratch 0
		.amdhsa_float_round_mode_32 0
		.amdhsa_float_round_mode_16_64 0
		.amdhsa_float_denorm_mode_32 3
		.amdhsa_float_denorm_mode_16_64 3
		.amdhsa_dx10_clamp 1
		.amdhsa_ieee_mode 1
		.amdhsa_fp16_overflow 0
		.amdhsa_exception_fp_ieee_invalid_op 0
		.amdhsa_exception_fp_denorm_src 0
		.amdhsa_exception_fp_ieee_div_zero 0
		.amdhsa_exception_fp_ieee_overflow 0
		.amdhsa_exception_fp_ieee_underflow 0
		.amdhsa_exception_fp_ieee_inexact 0
		.amdhsa_exception_int_div_zero 0
	.end_amdhsa_kernel
	.text
.Lfunc_end0:
	.size	fft_rtc_fwd_len560_factors_8_7_5_2_wgs_56_tpt_56_half_op_CI_CI_unitstride_sbrr_C2R_dirReg, .Lfunc_end0-fft_rtc_fwd_len560_factors_8_7_5_2_wgs_56_tpt_56_half_op_CI_CI_unitstride_sbrr_C2R_dirReg
                                        ; -- End function
	.section	.AMDGPU.csdata,"",@progbits
; Kernel info:
; codeLenInByte = 7404
; NumSgprs: 32
; NumVgprs: 57
; ScratchSize: 0
; MemoryBound: 0
; FloatMode: 240
; IeeeMode: 1
; LDSByteSize: 0 bytes/workgroup (compile time only)
; SGPRBlocks: 3
; VGPRBlocks: 14
; NumSGPRsForWavesPerEU: 32
; NumVGPRsForWavesPerEU: 57
; Occupancy: 4
; WaveLimiterHint : 1
; COMPUTE_PGM_RSRC2:SCRATCH_EN: 0
; COMPUTE_PGM_RSRC2:USER_SGPR: 6
; COMPUTE_PGM_RSRC2:TRAP_HANDLER: 0
; COMPUTE_PGM_RSRC2:TGID_X_EN: 1
; COMPUTE_PGM_RSRC2:TGID_Y_EN: 0
; COMPUTE_PGM_RSRC2:TGID_Z_EN: 0
; COMPUTE_PGM_RSRC2:TIDIG_COMP_CNT: 0
	.type	__hip_cuid_6aed0e6fd809828f,@object ; @__hip_cuid_6aed0e6fd809828f
	.section	.bss,"aw",@nobits
	.globl	__hip_cuid_6aed0e6fd809828f
__hip_cuid_6aed0e6fd809828f:
	.byte	0                               ; 0x0
	.size	__hip_cuid_6aed0e6fd809828f, 1

	.ident	"AMD clang version 19.0.0git (https://github.com/RadeonOpenCompute/llvm-project roc-6.4.0 25133 c7fe45cf4b819c5991fe208aaa96edf142730f1d)"
	.section	".note.GNU-stack","",@progbits
	.addrsig
	.addrsig_sym __hip_cuid_6aed0e6fd809828f
	.amdgpu_metadata
---
amdhsa.kernels:
  - .args:
      - .actual_access:  read_only
        .address_space:  global
        .offset:         0
        .size:           8
        .value_kind:     global_buffer
      - .offset:         8
        .size:           8
        .value_kind:     by_value
      - .actual_access:  read_only
        .address_space:  global
        .offset:         16
        .size:           8
        .value_kind:     global_buffer
      - .actual_access:  read_only
        .address_space:  global
        .offset:         24
        .size:           8
        .value_kind:     global_buffer
      - .actual_access:  read_only
        .address_space:  global
        .offset:         32
        .size:           8
        .value_kind:     global_buffer
      - .offset:         40
        .size:           8
        .value_kind:     by_value
      - .actual_access:  read_only
        .address_space:  global
        .offset:         48
        .size:           8
        .value_kind:     global_buffer
      - .actual_access:  read_only
        .address_space:  global
        .offset:         56
        .size:           8
        .value_kind:     global_buffer
      - .offset:         64
        .size:           4
        .value_kind:     by_value
      - .actual_access:  read_only
        .address_space:  global
        .offset:         72
        .size:           8
        .value_kind:     global_buffer
      - .actual_access:  read_only
        .address_space:  global
        .offset:         80
        .size:           8
        .value_kind:     global_buffer
      - .actual_access:  read_only
        .address_space:  global
        .offset:         88
        .size:           8
        .value_kind:     global_buffer
      - .actual_access:  write_only
        .address_space:  global
        .offset:         96
        .size:           8
        .value_kind:     global_buffer
    .group_segment_fixed_size: 0
    .kernarg_segment_align: 8
    .kernarg_segment_size: 104
    .language:       OpenCL C
    .language_version:
      - 2
      - 0
    .max_flat_workgroup_size: 56
    .name:           fft_rtc_fwd_len560_factors_8_7_5_2_wgs_56_tpt_56_half_op_CI_CI_unitstride_sbrr_C2R_dirReg
    .private_segment_fixed_size: 0
    .sgpr_count:     32
    .sgpr_spill_count: 0
    .symbol:         fft_rtc_fwd_len560_factors_8_7_5_2_wgs_56_tpt_56_half_op_CI_CI_unitstride_sbrr_C2R_dirReg.kd
    .uniform_work_group_size: 1
    .uses_dynamic_stack: false
    .vgpr_count:     57
    .vgpr_spill_count: 0
    .wavefront_size: 64
amdhsa.target:   amdgcn-amd-amdhsa--gfx906
amdhsa.version:
  - 1
  - 2
...

	.end_amdgpu_metadata
